;; amdgpu-corpus repo=ROCm/rocFFT kind=compiled arch=gfx906 opt=O3
	.text
	.amdgcn_target "amdgcn-amd-amdhsa--gfx906"
	.amdhsa_code_object_version 6
	.protected	fft_rtc_fwd_len336_factors_8_7_6_wgs_112_tpt_56_halfLds_half_op_CI_CI_sbrr_dirReg ; -- Begin function fft_rtc_fwd_len336_factors_8_7_6_wgs_112_tpt_56_halfLds_half_op_CI_CI_sbrr_dirReg
	.globl	fft_rtc_fwd_len336_factors_8_7_6_wgs_112_tpt_56_halfLds_half_op_CI_CI_sbrr_dirReg
	.p2align	8
	.type	fft_rtc_fwd_len336_factors_8_7_6_wgs_112_tpt_56_halfLds_half_op_CI_CI_sbrr_dirReg,@function
fft_rtc_fwd_len336_factors_8_7_6_wgs_112_tpt_56_halfLds_half_op_CI_CI_sbrr_dirReg: ; @fft_rtc_fwd_len336_factors_8_7_6_wgs_112_tpt_56_halfLds_half_op_CI_CI_sbrr_dirReg
; %bb.0:
	s_load_dwordx4 s[16:19], s[4:5], 0x18
	s_load_dwordx4 s[12:15], s[4:5], 0x0
	;; [unrolled: 1-line block ×3, first 2 shown]
	v_mul_u32_u24_e32 v1, 0x493, v0
	v_lshrrev_b32_e32 v11, 16, v1
	s_waitcnt lgkmcnt(0)
	s_load_dwordx2 s[2:3], s[16:17], 0x0
	s_load_dwordx2 s[20:21], s[18:19], 0x0
	v_cmp_lt_u64_e64 s[0:1], s[14:15], 2
	v_mov_b32_e32 v7, 0
	v_mov_b32_e32 v5, 0
	v_lshl_add_u32 v9, s6, 1, v11
	v_mov_b32_e32 v10, v7
	s_and_b64 vcc, exec, s[0:1]
	v_mov_b32_e32 v6, 0
	s_cbranch_vccnz .LBB0_8
; %bb.1:
	s_load_dwordx2 s[0:1], s[4:5], 0x10
	s_add_u32 s6, s18, 8
	s_addc_u32 s7, s19, 0
	s_add_u32 s22, s16, 8
	s_addc_u32 s23, s17, 0
	v_mov_b32_e32 v5, 0
	s_waitcnt lgkmcnt(0)
	s_add_u32 s24, s0, 8
	v_mov_b32_e32 v6, 0
	v_mov_b32_e32 v1, v5
	s_addc_u32 s25, s1, 0
	s_mov_b64 s[26:27], 1
	v_mov_b32_e32 v2, v6
.LBB0_2:                                ; =>This Inner Loop Header: Depth=1
	s_load_dwordx2 s[28:29], s[24:25], 0x0
                                        ; implicit-def: $vgpr3_vgpr4
	s_waitcnt lgkmcnt(0)
	v_or_b32_e32 v8, s29, v10
	v_cmp_ne_u64_e32 vcc, 0, v[7:8]
	s_and_saveexec_b64 s[0:1], vcc
	s_xor_b64 s[30:31], exec, s[0:1]
	s_cbranch_execz .LBB0_4
; %bb.3:                                ;   in Loop: Header=BB0_2 Depth=1
	v_cvt_f32_u32_e32 v3, s28
	v_cvt_f32_u32_e32 v4, s29
	s_sub_u32 s0, 0, s28
	s_subb_u32 s1, 0, s29
	v_mac_f32_e32 v3, 0x4f800000, v4
	v_rcp_f32_e32 v3, v3
	v_mul_f32_e32 v3, 0x5f7ffffc, v3
	v_mul_f32_e32 v4, 0x2f800000, v3
	v_trunc_f32_e32 v4, v4
	v_mac_f32_e32 v3, 0xcf800000, v4
	v_cvt_u32_f32_e32 v4, v4
	v_cvt_u32_f32_e32 v3, v3
	v_mul_lo_u32 v8, s0, v4
	v_mul_hi_u32 v12, s0, v3
	v_mul_lo_u32 v14, s1, v3
	v_mul_lo_u32 v13, s0, v3
	v_add_u32_e32 v8, v12, v8
	v_add_u32_e32 v8, v8, v14
	v_mul_hi_u32 v12, v3, v13
	v_mul_lo_u32 v14, v3, v8
	v_mul_hi_u32 v16, v3, v8
	v_mul_hi_u32 v15, v4, v13
	v_mul_lo_u32 v13, v4, v13
	v_mul_hi_u32 v17, v4, v8
	v_add_co_u32_e32 v12, vcc, v12, v14
	v_addc_co_u32_e32 v14, vcc, 0, v16, vcc
	v_mul_lo_u32 v8, v4, v8
	v_add_co_u32_e32 v12, vcc, v12, v13
	v_addc_co_u32_e32 v12, vcc, v14, v15, vcc
	v_addc_co_u32_e32 v13, vcc, 0, v17, vcc
	v_add_co_u32_e32 v8, vcc, v12, v8
	v_addc_co_u32_e32 v12, vcc, 0, v13, vcc
	v_add_co_u32_e32 v3, vcc, v3, v8
	v_addc_co_u32_e32 v4, vcc, v4, v12, vcc
	v_mul_lo_u32 v8, s0, v4
	v_mul_hi_u32 v12, s0, v3
	v_mul_lo_u32 v13, s1, v3
	v_mul_lo_u32 v14, s0, v3
	v_add_u32_e32 v8, v12, v8
	v_add_u32_e32 v8, v8, v13
	v_mul_lo_u32 v15, v3, v8
	v_mul_hi_u32 v16, v3, v14
	v_mul_hi_u32 v17, v3, v8
	;; [unrolled: 1-line block ×3, first 2 shown]
	v_mul_lo_u32 v14, v4, v14
	v_mul_hi_u32 v12, v4, v8
	v_add_co_u32_e32 v15, vcc, v16, v15
	v_addc_co_u32_e32 v16, vcc, 0, v17, vcc
	v_mul_lo_u32 v8, v4, v8
	v_add_co_u32_e32 v14, vcc, v15, v14
	v_addc_co_u32_e32 v13, vcc, v16, v13, vcc
	v_addc_co_u32_e32 v12, vcc, 0, v12, vcc
	v_add_co_u32_e32 v8, vcc, v13, v8
	v_addc_co_u32_e32 v12, vcc, 0, v12, vcc
	v_add_co_u32_e32 v8, vcc, v3, v8
	v_addc_co_u32_e32 v12, vcc, v4, v12, vcc
	v_mad_u64_u32 v[3:4], s[0:1], v9, v12, 0
	v_mul_hi_u32 v13, v9, v8
	v_add_co_u32_e32 v14, vcc, v13, v3
	v_addc_co_u32_e32 v15, vcc, 0, v4, vcc
	v_mad_u64_u32 v[3:4], s[0:1], v10, v8, 0
	v_mad_u64_u32 v[12:13], s[0:1], v10, v12, 0
	v_add_co_u32_e32 v3, vcc, v14, v3
	v_addc_co_u32_e32 v3, vcc, v15, v4, vcc
	v_addc_co_u32_e32 v4, vcc, 0, v13, vcc
	v_add_co_u32_e32 v8, vcc, v3, v12
	v_addc_co_u32_e32 v12, vcc, 0, v4, vcc
	v_mul_lo_u32 v13, s29, v8
	v_mul_lo_u32 v14, s28, v12
	v_mad_u64_u32 v[3:4], s[0:1], s28, v8, 0
	v_add3_u32 v4, v4, v14, v13
	v_sub_u32_e32 v13, v10, v4
	v_mov_b32_e32 v14, s29
	v_sub_co_u32_e32 v3, vcc, v9, v3
	v_subb_co_u32_e64 v13, s[0:1], v13, v14, vcc
	v_subrev_co_u32_e64 v14, s[0:1], s28, v3
	v_subbrev_co_u32_e64 v13, s[0:1], 0, v13, s[0:1]
	v_cmp_le_u32_e64 s[0:1], s29, v13
	v_cndmask_b32_e64 v15, 0, -1, s[0:1]
	v_cmp_le_u32_e64 s[0:1], s28, v14
	v_cndmask_b32_e64 v14, 0, -1, s[0:1]
	v_cmp_eq_u32_e64 s[0:1], s29, v13
	v_cndmask_b32_e64 v13, v15, v14, s[0:1]
	v_add_co_u32_e64 v14, s[0:1], 2, v8
	v_addc_co_u32_e64 v15, s[0:1], 0, v12, s[0:1]
	v_add_co_u32_e64 v16, s[0:1], 1, v8
	v_addc_co_u32_e64 v17, s[0:1], 0, v12, s[0:1]
	v_subb_co_u32_e32 v4, vcc, v10, v4, vcc
	v_cmp_ne_u32_e64 s[0:1], 0, v13
	v_cmp_le_u32_e32 vcc, s29, v4
	v_cndmask_b32_e64 v13, v17, v15, s[0:1]
	v_cndmask_b32_e64 v15, 0, -1, vcc
	v_cmp_le_u32_e32 vcc, s28, v3
	v_cndmask_b32_e64 v3, 0, -1, vcc
	v_cmp_eq_u32_e32 vcc, s29, v4
	v_cndmask_b32_e32 v3, v15, v3, vcc
	v_cmp_ne_u32_e32 vcc, 0, v3
	v_cndmask_b32_e64 v3, v16, v14, s[0:1]
	v_cndmask_b32_e32 v4, v12, v13, vcc
	v_cndmask_b32_e32 v3, v8, v3, vcc
.LBB0_4:                                ;   in Loop: Header=BB0_2 Depth=1
	s_andn2_saveexec_b64 s[0:1], s[30:31]
	s_cbranch_execz .LBB0_6
; %bb.5:                                ;   in Loop: Header=BB0_2 Depth=1
	v_cvt_f32_u32_e32 v3, s28
	s_sub_i32 s30, 0, s28
	v_rcp_iflag_f32_e32 v3, v3
	v_mul_f32_e32 v3, 0x4f7ffffe, v3
	v_cvt_u32_f32_e32 v3, v3
	v_mul_lo_u32 v4, s30, v3
	v_mul_hi_u32 v4, v3, v4
	v_add_u32_e32 v3, v3, v4
	v_mul_hi_u32 v3, v9, v3
	v_mul_lo_u32 v4, v3, s28
	v_add_u32_e32 v8, 1, v3
	v_sub_u32_e32 v4, v9, v4
	v_subrev_u32_e32 v12, s28, v4
	v_cmp_le_u32_e32 vcc, s28, v4
	v_cndmask_b32_e32 v4, v4, v12, vcc
	v_cndmask_b32_e32 v3, v3, v8, vcc
	v_add_u32_e32 v8, 1, v3
	v_cmp_le_u32_e32 vcc, s28, v4
	v_cndmask_b32_e32 v3, v3, v8, vcc
	v_mov_b32_e32 v4, v7
.LBB0_6:                                ;   in Loop: Header=BB0_2 Depth=1
	s_or_b64 exec, exec, s[0:1]
	v_mul_lo_u32 v8, v4, s28
	v_mul_lo_u32 v14, v3, s29
	v_mad_u64_u32 v[12:13], s[0:1], v3, s28, 0
	s_load_dwordx2 s[0:1], s[22:23], 0x0
	s_load_dwordx2 s[28:29], s[6:7], 0x0
	v_add3_u32 v8, v13, v14, v8
	v_sub_co_u32_e32 v9, vcc, v9, v12
	v_subb_co_u32_e32 v8, vcc, v10, v8, vcc
	s_waitcnt lgkmcnt(0)
	v_mul_lo_u32 v10, s0, v8
	v_mul_lo_u32 v12, s1, v9
	v_mad_u64_u32 v[5:6], s[0:1], s0, v9, v[5:6]
	v_mul_lo_u32 v8, s28, v8
	v_mul_lo_u32 v13, s29, v9
	v_mad_u64_u32 v[1:2], s[0:1], s28, v9, v[1:2]
	s_add_u32 s26, s26, 1
	s_addc_u32 s27, s27, 0
	s_add_u32 s6, s6, 8
	v_add3_u32 v2, v13, v2, v8
	s_addc_u32 s7, s7, 0
	v_mov_b32_e32 v8, s14
	s_add_u32 s22, s22, 8
	v_mov_b32_e32 v9, s15
	s_addc_u32 s23, s23, 0
	v_cmp_ge_u64_e32 vcc, s[26:27], v[8:9]
	s_add_u32 s24, s24, 8
	v_add3_u32 v6, v12, v6, v10
	s_addc_u32 s25, s25, 0
	s_cbranch_vccnz .LBB0_9
; %bb.7:                                ;   in Loop: Header=BB0_2 Depth=1
	v_mov_b32_e32 v10, v4
	v_mov_b32_e32 v9, v3
	s_branch .LBB0_2
.LBB0_8:
	v_mov_b32_e32 v1, v5
	v_mov_b32_e32 v3, v9
	;; [unrolled: 1-line block ×4, first 2 shown]
.LBB0_9:
	s_lshl_b64 s[22:23], s[14:15], 3
	s_load_dwordx2 s[0:1], s[4:5], 0x28
	s_add_u32 s4, s18, s22
	s_mov_b32 s5, 0x4924925
	v_mul_hi_u32 v7, v0, s5
	s_addc_u32 s5, s19, s23
	s_load_dwordx2 s[4:5], s[4:5], 0x0
	s_waitcnt lgkmcnt(0)
	v_cmp_gt_u64_e32 vcc, s[0:1], v[3:4]
	v_mul_u32_u24_e32 v7, 56, v7
	v_sub_u32_e32 v0, v0, v7
	v_mov_b32_e32 v9, 0
	v_mov_b32_e32 v7, 0
	v_mov_b32_e32 v15, 0
	v_mov_b32_e32 v21, 0
	v_mov_b32_e32 v13, 0
	v_mov_b32_e32 v10, 0
	v_mov_b32_e32 v14, 0
	v_mov_b32_e32 v20, 0
	v_mov_b32_e32 v8, 0
                                        ; implicit-def: $vgpr12
                                        ; implicit-def: $vgpr18
                                        ; implicit-def: $vgpr23
                                        ; implicit-def: $vgpr16
                                        ; implicit-def: $vgpr24
                                        ; implicit-def: $vgpr19
                                        ; implicit-def: $vgpr22
                                        ; implicit-def: $vgpr17
	s_and_saveexec_b64 s[6:7], vcc
	s_cbranch_execz .LBB0_13
; %bb.10:
	v_cmp_gt_u32_e64 s[0:1], 42, v0
	v_mov_b32_e32 v8, 0
	v_mov_b32_e32 v20, 0
	;; [unrolled: 1-line block ×8, first 2 shown]
                                        ; implicit-def: $vgpr17
                                        ; implicit-def: $vgpr22
                                        ; implicit-def: $vgpr19
                                        ; implicit-def: $vgpr24
                                        ; implicit-def: $vgpr16
                                        ; implicit-def: $vgpr23
                                        ; implicit-def: $vgpr18
                                        ; implicit-def: $vgpr12
	s_and_saveexec_b64 s[14:15], s[0:1]
	s_cbranch_execz .LBB0_12
; %bb.11:
	s_add_u32 s0, s16, s22
	s_addc_u32 s1, s17, s23
	s_load_dwordx2 s[0:1], s[0:1], 0x0
	v_mad_u64_u32 v[7:8], s[16:17], s2, v0, 0
	v_lshlrev_b64 v[5:6], 2, v[5:6]
	s_waitcnt lgkmcnt(0)
	v_mul_lo_u32 v14, s1, v3
	v_mul_lo_u32 v15, s0, v4
	v_mad_u64_u32 v[9:10], s[0:1], s0, v3, 0
	v_mad_u64_u32 v[12:13], s[0:1], s3, v0, v[8:9]
	v_add3_u32 v10, v10, v15, v14
	v_lshlrev_b64 v[9:10], 2, v[9:10]
	v_mov_b32_e32 v8, v12
	v_mov_b32_e32 v12, s9
	v_add_co_u32_e64 v13, s[0:1], s8, v9
	v_add_u32_e32 v14, 42, v0
	v_addc_co_u32_e64 v12, s[0:1], v12, v10, s[0:1]
	v_mad_u64_u32 v[9:10], s[0:1], s2, v14, 0
	v_add_co_u32_e64 v16, s[0:1], v13, v5
	v_addc_co_u32_e64 v17, s[0:1], v12, v6, s[0:1]
	v_lshlrev_b64 v[5:6], 2, v[7:8]
	v_mov_b32_e32 v7, v10
	v_mad_u64_u32 v[7:8], s[0:1], s3, v14, v[7:8]
	v_add_u32_e32 v14, 0x54, v0
	v_mad_u64_u32 v[12:13], s[0:1], s2, v14, 0
	v_mov_b32_e32 v10, v7
	v_add_co_u32_e64 v5, s[0:1], v16, v5
	v_lshlrev_b64 v[7:8], 2, v[9:10]
	v_mov_b32_e32 v9, v13
	v_addc_co_u32_e64 v6, s[0:1], v17, v6, s[0:1]
	v_mad_u64_u32 v[9:10], s[0:1], s3, v14, v[9:10]
	v_add_u32_e32 v10, 0x7e, v0
	v_mad_u64_u32 v[14:15], s[0:1], s2, v10, 0
	v_add_co_u32_e64 v20, s[0:1], v16, v7
	v_mov_b32_e32 v13, v9
	v_mov_b32_e32 v9, v15
	v_addc_co_u32_e64 v21, s[0:1], v17, v8, s[0:1]
	v_mad_u64_u32 v[9:10], s[0:1], s3, v10, v[9:10]
	v_add_u32_e32 v10, 0xa8, v0
	v_lshlrev_b64 v[7:8], 2, v[12:13]
	v_mad_u64_u32 v[12:13], s[0:1], s2, v10, 0
	v_add_co_u32_e64 v22, s[0:1], v16, v7
	v_mov_b32_e32 v15, v9
	v_mov_b32_e32 v9, v13
	v_addc_co_u32_e64 v23, s[0:1], v17, v8, s[0:1]
	v_mad_u64_u32 v[9:10], s[0:1], s3, v10, v[9:10]
	v_add_u32_e32 v10, 0xd2, v0
	v_lshlrev_b64 v[7:8], 2, v[14:15]
	;; [unrolled: 8-line block ×4, first 2 shown]
	v_mad_u64_u32 v[14:15], s[0:1], s2, v10, 0
	v_add_co_u32_e64 v28, s[0:1], v16, v7
	v_mov_b32_e32 v13, v9
	v_mov_b32_e32 v9, v15
	v_addc_co_u32_e64 v29, s[0:1], v17, v8, s[0:1]
	v_mad_u64_u32 v[9:10], s[0:1], s3, v10, v[9:10]
	v_lshlrev_b64 v[7:8], 2, v[12:13]
	v_add_co_u32_e64 v30, s[0:1], v16, v7
	v_mov_b32_e32 v15, v9
	v_addc_co_u32_e64 v31, s[0:1], v17, v8, s[0:1]
	v_lshlrev_b64 v[7:8], 2, v[14:15]
	v_add_co_u32_e64 v9, s[0:1], v16, v7
	v_addc_co_u32_e64 v10, s[0:1], v17, v8, s[0:1]
	global_load_dword v15, v[5:6], off
	global_load_dword v13, v[20:21], off
	;; [unrolled: 1-line block ×8, first 2 shown]
	s_waitcnt vmcnt(7)
	v_lshrrev_b32_e32 v9, 16, v15
	s_waitcnt vmcnt(6)
	v_lshrrev_b32_e32 v21, 16, v13
	;; [unrolled: 2-line block ×8, first 2 shown]
.LBB0_12:
	s_or_b64 exec, exec, s[14:15]
	v_mov_b32_e32 v7, v0
.LBB0_13:
	s_or_b64 exec, exec, s[6:7]
	v_and_b32_e32 v5, 1, v11
	v_mov_b32_e32 v6, 0x150
	v_cmp_eq_u32_e64 s[0:1], 1, v5
	v_cndmask_b32_e64 v5, 0, v6, s[0:1]
	v_sub_f16_e32 v6, v15, v18
	v_fma_f16 v11, v15, 2.0, -v6
	v_sub_f16_e32 v18, v14, v19
	v_sub_f16_e32 v15, v13, v16
	;; [unrolled: 1-line block ×4, first 2 shown]
	v_fma_f16 v14, v14, 2.0, -v18
	v_sub_f16_e32 v16, v21, v23
	v_fma_f16 v13, v13, 2.0, -v15
	v_sub_f16_e32 v23, v20, v22
	v_fma_f16 v8, v8, 2.0, -v17
	v_fma_f16 v22, v20, 2.0, -v23
	v_sub_f16_e32 v26, v11, v14
	v_sub_f16_e32 v28, v6, v19
	;; [unrolled: 1-line block ×3, first 2 shown]
	v_fma_f16 v21, v21, 2.0, -v16
	v_fma_f16 v14, v11, 2.0, -v26
	;; [unrolled: 1-line block ×4, first 2 shown]
	v_sub_f16_e32 v6, v15, v23
	v_sub_f16_e32 v22, v21, v22
	v_add_f16_e32 v25, v16, v17
	v_fma_f16 v24, v15, 2.0, -v6
	v_sub_f16_e32 v11, v14, v8
	s_movk_i32 s0, 0x39a8
	s_mov_b32 s1, 0xb9a8
	v_fma_f16 v27, v16, 2.0, -v25
	v_fma_f16 v8, v14, 2.0, -v11
	v_fma_f16 v13, v24, s1, v29
	v_sub_f16_e32 v14, v26, v22
	v_fma_f16 v17, v6, s0, v28
	v_fma_f16 v13, v27, s1, v13
	v_fma_f16 v16, v26, 2.0, -v14
	v_fma_f16 v26, v25, s1, v17
	v_fma_f16 v15, v29, 2.0, -v13
	v_fma_f16 v17, v28, 2.0, -v26
	v_cmp_gt_u32_e64 s[2:3], 42, v0
	v_lshlrev_b32_e32 v23, 4, v0
	v_lshlrev_b32_e32 v5, 1, v5
	s_and_saveexec_b64 s[0:1], s[2:3]
	s_cbranch_execz .LBB0_15
; %bb.14:
	s_mov_b32 s6, 0x5040100
	v_add3_u32 v28, 0, v23, v5
	v_perm_b32 v29, v17, v16, s6
	v_perm_b32 v30, v15, v8, s6
	ds_write2_b32 v28, v30, v29 offset1:1
	v_perm_b32 v26, v26, v14, s6
	v_perm_b32 v29, v13, v11, s6
	ds_write2_b32 v28, v29, v26 offset0:2 offset1:3
.LBB0_15:
	s_or_b64 exec, exec, s[0:1]
	v_mul_f16_e32 v26, 0x39a8, v24
	v_mul_f16_e32 v27, 0x39a8, v27
	;; [unrolled: 1-line block ×4, first 2 shown]
	v_cmp_gt_u32_e64 s[0:1], 48, v0
	v_lshlrev_b32_e32 v6, 1, v0
	s_waitcnt lgkmcnt(0)
	s_barrier
	s_and_saveexec_b64 s[6:7], s[0:1]
	s_cbranch_execz .LBB0_17
; %bb.16:
	v_add3_u32 v8, 0, v5, v6
	v_add3_u32 v14, 0, v6, v5
	ds_read_u16 v8, v8
	ds_read_u16 v15, v14 offset:96
	ds_read_u16 v16, v14 offset:192
	;; [unrolled: 1-line block ×6, first 2 shown]
.LBB0_17:
	s_or_b64 exec, exec, s[6:7]
	v_sub_f16_e32 v12, v9, v12
	v_add_f16_e32 v28, v12, v18
	v_fma_f16 v10, v10, 2.0, -v19
	v_fma_f16 v19, v12, 2.0, -v28
	;; [unrolled: 1-line block ×3, first 2 shown]
	v_sub_f16_e32 v18, v19, v27
	v_sub_f16_e32 v10, v9, v10
	v_add_f16_e32 v18, v26, v18
	v_fma_f16 v12, v21, 2.0, -v22
	v_fma_f16 v21, v19, 2.0, -v18
	v_add_f16_e32 v19, v10, v20
	v_fma_f16 v9, v9, 2.0, -v10
	v_fma_f16 v22, v10, 2.0, -v19
	v_add_f16_e32 v10, v28, v25
	v_sub_f16_e32 v12, v9, v12
	v_add_f16_e32 v10, v24, v10
	v_fma_f16 v9, v9, 2.0, -v12
	v_fma_f16 v25, v28, 2.0, -v10
	s_waitcnt lgkmcnt(0)
	s_barrier
	s_and_saveexec_b64 s[6:7], s[2:3]
	s_cbranch_execz .LBB0_19
; %bb.18:
	s_mov_b32 s2, 0x5040100
	v_add3_u32 v20, 0, v23, v5
	v_perm_b32 v23, v25, v22, s2
	v_perm_b32 v24, v21, v9, s2
	ds_write2_b32 v20, v24, v23 offset1:1
	v_perm_b32 v10, v10, v19, s2
	v_perm_b32 v23, v18, v12, s2
	ds_write2_b32 v20, v23, v10 offset0:2 offset1:3
.LBB0_19:
	s_or_b64 exec, exec, s[6:7]
	s_waitcnt lgkmcnt(0)
	s_barrier
	s_and_saveexec_b64 s[2:3], s[0:1]
	s_cbranch_execz .LBB0_21
; %bb.20:
	v_add3_u32 v9, 0, v5, v6
	v_add3_u32 v10, 0, v6, v5
	ds_read_u16 v9, v9
	ds_read_u16 v21, v10 offset:96
	ds_read_u16 v22, v10 offset:192
	;; [unrolled: 1-line block ×6, first 2 shown]
.LBB0_21:
	s_or_b64 exec, exec, s[2:3]
	v_and_b32_e32 v10, 7, v0
	v_mul_u32_u24_e32 v20, 6, v10
	v_lshlrev_b32_e32 v20, 2, v20
	global_load_dwordx4 v[26:29], v20, s[12:13]
	global_load_dwordx2 v[30:31], v20, s[12:13] offset:16
	s_waitcnt vmcnt(0) lgkmcnt(0)
	s_barrier
	v_mul_f16_sdwa v20, v21, v26 dst_sel:DWORD dst_unused:UNUSED_PAD src0_sel:DWORD src1_sel:WORD_1
	v_mul_f16_sdwa v23, v15, v26 dst_sel:DWORD dst_unused:UNUSED_PAD src0_sel:DWORD src1_sel:WORD_1
	v_mul_f16_sdwa v24, v22, v27 dst_sel:DWORD dst_unused:UNUSED_PAD src0_sel:DWORD src1_sel:WORD_1
	v_mul_f16_sdwa v32, v16, v27 dst_sel:DWORD dst_unused:UNUSED_PAD src0_sel:DWORD src1_sel:WORD_1
	v_mul_f16_sdwa v33, v25, v28 dst_sel:DWORD dst_unused:UNUSED_PAD src0_sel:DWORD src1_sel:WORD_1
	v_mul_f16_sdwa v34, v17, v28 dst_sel:DWORD dst_unused:UNUSED_PAD src0_sel:DWORD src1_sel:WORD_1
	v_mul_f16_sdwa v35, v12, v29 dst_sel:DWORD dst_unused:UNUSED_PAD src0_sel:DWORD src1_sel:WORD_1
	v_mul_f16_sdwa v36, v11, v29 dst_sel:DWORD dst_unused:UNUSED_PAD src0_sel:DWORD src1_sel:WORD_1
	v_mul_f16_sdwa v37, v18, v30 dst_sel:DWORD dst_unused:UNUSED_PAD src0_sel:DWORD src1_sel:WORD_1
	v_mul_f16_sdwa v38, v13, v30 dst_sel:DWORD dst_unused:UNUSED_PAD src0_sel:DWORD src1_sel:WORD_1
	v_mul_f16_sdwa v39, v19, v31 dst_sel:DWORD dst_unused:UNUSED_PAD src0_sel:DWORD src1_sel:WORD_1
	v_mul_f16_sdwa v40, v14, v31 dst_sel:DWORD dst_unused:UNUSED_PAD src0_sel:DWORD src1_sel:WORD_1
	v_fma_f16 v20, v15, v26, -v20
	v_fma_f16 v23, v21, v26, v23
	v_fma_f16 v21, v16, v27, -v24
	v_fma_f16 v24, v22, v27, v32
	;; [unrolled: 2-line block ×6, first 2 shown]
	v_lshrrev_b32_e32 v16, 3, v0
	s_and_saveexec_b64 s[2:3], s[0:1]
	s_cbranch_execz .LBB0_23
; %bb.22:
	v_add_f16_e32 v11, v20, v29
	v_add_f16_e32 v14, v21, v28
	v_add_f16_e32 v12, v22, v26
	v_add_f16_e32 v17, v14, v11
	v_sub_f16_e32 v13, v11, v12
	v_sub_f16_e32 v15, v12, v14
	v_add_f16_e32 v12, v12, v17
	v_sub_f16_e32 v17, v23, v19
	v_sub_f16_e32 v30, v27, v25
	v_sub_f16_e32 v32, v24, v18
	v_sub_f16_e32 v31, v17, v30
	v_sub_f16_e32 v11, v14, v11
	v_sub_f16_e32 v14, v30, v32
	v_add_f16_e32 v30, v30, v32
	v_add_f16_e32 v30, v30, v17
	v_sub_f16_e32 v17, v32, v17
	v_mul_f16_e32 v14, 0xb846, v14
	s_movk_i32 s7, 0x3574
	v_mul_f16_e32 v32, 0x3b00, v17
	s_mov_b32 s8, 0xb574
	v_mul_f16_e32 v13, 0x3a52, v13
	s_movk_i32 s6, 0x2b26
	v_fma_f16 v32, v31, s8, -v32
	v_fma_f16 v31, v31, s7, v14
	s_movk_i32 s7, 0x3b00
	v_fma_f16 v14, v17, s7, -v14
	v_mul_f16_e32 v17, 0x2b26, v15
	v_fma_f16 v15, v15, s6, v13
	v_add_f16_e32 v8, v8, v12
	s_mov_b32 s6, 0xbcab
	v_fma_f16 v12, v12, s6, v8
	s_movk_i32 s6, 0x370e
	v_fma_f16 v31, v30, s6, v31
	v_fma_f16 v32, v30, s6, v32
	;; [unrolled: 1-line block ×3, first 2 shown]
	s_mov_b32 s6, 0xb9e0
	v_fma_f16 v13, v11, s6, -v13
	s_movk_i32 s6, 0x39e0
	v_fma_f16 v11, v11, s6, -v17
	v_add_f16_e32 v15, v15, v12
	v_add_f16_e32 v11, v11, v12
	v_sub_f16_e32 v30, v15, v31
	v_add_f16_e32 v13, v13, v12
	v_add_f16_e32 v12, v14, v11
	v_sub_f16_e32 v11, v11, v14
	v_add_f16_e32 v14, v31, v15
	v_mul_u32_u24_e32 v15, 56, v16
	v_or_b32_e32 v15, v15, v10
	v_lshlrev_b32_e32 v15, 1, v15
	v_add3_u32 v15, 0, v15, v5
	v_sub_f16_e32 v17, v13, v32
	v_add_f16_e32 v13, v32, v13
	ds_write_b16 v15, v8
	ds_write_b16 v15, v14 offset:16
	ds_write_b16 v15, v13 offset:32
	;; [unrolled: 1-line block ×6, first 2 shown]
.LBB0_23:
	s_or_b64 exec, exec, s[2:3]
	v_add3_u32 v17, 0, v5, v6
	s_waitcnt lgkmcnt(0)
	s_barrier
	v_add3_u32 v15, 0, v6, v5
	ds_read_u16 v6, v17
	ds_read_u16 v8, v15 offset:112
	ds_read_u16 v13, v15 offset:224
	;; [unrolled: 1-line block ×5, first 2 shown]
	s_waitcnt lgkmcnt(0)
	s_barrier
	s_and_saveexec_b64 s[2:3], s[0:1]
	s_cbranch_execz .LBB0_25
; %bb.24:
	v_add_f16_e32 v19, v23, v19
	v_add_f16_e32 v18, v24, v18
	;; [unrolled: 1-line block ×4, first 2 shown]
	v_sub_f16_e32 v25, v18, v19
	v_sub_f16_e32 v19, v19, v23
	;; [unrolled: 1-line block ×3, first 2 shown]
	v_mul_f16_e32 v19, 0x3a52, v19
	s_movk_i32 s0, 0x2b26
	v_sub_f16_e32 v21, v21, v28
	v_sub_f16_e32 v22, v26, v22
	v_add_f16_e32 v23, v23, v24
	v_mul_f16_e32 v24, 0x2b26, v18
	v_fma_f16 v18, v18, s0, v19
	s_movk_i32 s0, 0x39e0
	v_sub_f16_e32 v20, v20, v29
	v_add_f16_e32 v26, v22, v21
	v_sub_f16_e32 v27, v22, v21
	v_fma_f16 v24, v25, s0, -v24
	s_mov_b32 s0, 0xb9e0
	v_sub_f16_e32 v22, v20, v22
	v_sub_f16_e32 v21, v21, v20
	v_add_f16_e32 v20, v26, v20
	v_mul_f16_e32 v26, 0xb846, v27
	v_fma_f16 v19, v25, s0, -v19
	s_movk_i32 s0, 0x3574
	v_mul_u32_u24_e32 v16, 56, v16
	v_add_f16_e32 v9, v9, v23
	s_movk_i32 s1, 0x3b00
	v_mul_f16_e32 v27, 0x3b00, v21
	s_mov_b32 s6, 0xbcab
	v_fma_f16 v25, v22, s0, v26
	s_mov_b32 s0, 0xb574
	v_or_b32_e32 v10, v16, v10
	v_fma_f16 v23, v23, s6, v9
	v_fma_f16 v21, v21, s1, -v26
	v_fma_f16 v22, v22, s0, -v27
	s_movk_i32 s0, 0x370e
	v_lshlrev_b32_e32 v10, 1, v10
	v_add_f16_e32 v18, v18, v23
	v_add_f16_e32 v24, v24, v23
	;; [unrolled: 1-line block ×3, first 2 shown]
	v_fma_f16 v23, v20, s0, v25
	v_fma_f16 v21, v20, s0, v21
	;; [unrolled: 1-line block ×3, first 2 shown]
	v_add3_u32 v5, 0, v10, v5
	v_sub_f16_e32 v22, v18, v23
	v_sub_f16_e32 v25, v19, v20
	v_add_f16_e32 v26, v21, v24
	v_sub_f16_e32 v21, v24, v21
	v_add_f16_e32 v19, v20, v19
	v_add_f16_e32 v18, v23, v18
	ds_write_b16 v5, v9
	ds_write_b16 v5, v22 offset:16
	ds_write_b16 v5, v25 offset:32
	;; [unrolled: 1-line block ×6, first 2 shown]
.LBB0_25:
	s_or_b64 exec, exec, s[2:3]
	s_waitcnt lgkmcnt(0)
	s_barrier
	s_and_saveexec_b64 s[0:1], vcc
	s_cbranch_execz .LBB0_27
; %bb.26:
	v_mul_u32_u24_e32 v0, 5, v0
	v_lshlrev_b32_e32 v0, 2, v0
	global_load_dwordx4 v[18:21], v0, s[12:13] offset:192
	global_load_dword v5, v0, s[12:13] offset:208
	v_mul_lo_u32 v0, s5, v3
	v_mul_lo_u32 v16, s4, v4
	v_mad_u64_u32 v[3:4], s[0:1], s4, v3, 0
	v_mad_u64_u32 v[9:10], s[0:1], s20, v7, 0
	ds_read_u16 v17, v17
	ds_read_u16 v22, v15 offset:560
	ds_read_u16 v23, v15 offset:448
	;; [unrolled: 1-line block ×5, first 2 shown]
	v_add3_u32 v4, v4, v16, v0
	v_mov_b32_e32 v0, v10
	v_mad_u64_u32 v[15:16], s[0:1], s21, v7, v[0:1]
	s_movk_i32 s2, 0x3aee
	s_mov_b32 s3, 0xbaee
	v_lshlrev_b64 v[3:4], 2, v[3:4]
	s_waitcnt vmcnt(1) lgkmcnt(1)
	v_mul_f16_sdwa v0, v25, v19 dst_sel:DWORD dst_unused:UNUSED_PAD src0_sel:DWORD src1_sel:WORD_1
	v_mul_f16_sdwa v16, v13, v19 dst_sel:DWORD dst_unused:UNUSED_PAD src0_sel:DWORD src1_sel:WORD_1
	;; [unrolled: 1-line block ×3, first 2 shown]
	s_waitcnt vmcnt(0)
	v_mul_f16_sdwa v30, v22, v5 dst_sel:DWORD dst_unused:UNUSED_PAD src0_sel:DWORD src1_sel:WORD_1
	v_mul_f16_sdwa v31, v11, v20 dst_sel:DWORD dst_unused:UNUSED_PAD src0_sel:DWORD src1_sel:WORD_1
	;; [unrolled: 1-line block ×5, first 2 shown]
	s_waitcnt lgkmcnt(0)
	v_mul_f16_sdwa v28, v26, v18 dst_sel:DWORD dst_unused:UNUSED_PAD src0_sel:DWORD src1_sel:WORD_1
	v_mul_f16_sdwa v33, v8, v18 dst_sel:DWORD dst_unused:UNUSED_PAD src0_sel:DWORD src1_sel:WORD_1
	v_fma_f16 v0, v13, v19, -v0
	v_fma_f16 v13, v19, v25, v16
	v_fma_f16 v11, v11, v20, -v29
	v_fma_f16 v12, v12, v5, -v30
	v_fma_f16 v16, v20, v24, v31
	v_fma_f16 v5, v5, v22, v32
	v_fma_f16 v10, v14, v21, -v10
	v_fma_f16 v14, v21, v23, v27
	v_fma_f16 v8, v8, v18, -v28
	v_fma_f16 v18, v18, v26, v33
	v_add_f16_e32 v21, v11, v12
	v_add_f16_e32 v24, v16, v5
	v_sub_f16_e32 v19, v0, v10
	v_add_f16_e32 v20, v13, v14
	v_sub_f16_e32 v22, v16, v5
	v_sub_f16_e32 v23, v11, v12
	v_add_f16_e32 v25, v13, v17
	v_add_f16_e32 v16, v18, v16
	;; [unrolled: 1-line block ×5, first 2 shown]
	v_fma_f16 v8, v21, -0.5, v8
	v_fma_f16 v18, v24, -0.5, v18
	v_sub_f16_e32 v13, v13, v14
	v_fma_f16 v17, v20, -0.5, v17
	v_add_f16_e32 v14, v14, v25
	v_add_f16_e32 v5, v16, v5
	v_fma_f16 v6, v26, -0.5, v6
	v_add_f16_e32 v0, v0, v10
	v_add_f16_e32 v10, v11, v12
	v_fma_f16 v12, v22, s3, v8
	v_fma_f16 v16, v23, s2, v18
	;; [unrolled: 1-line block ×6, first 2 shown]
	v_sub_f16_e32 v19, v14, v5
	v_fma_f16 v20, v13, s3, v6
	v_fma_f16 v6, v13, s2, v6
	v_sub_f16_e32 v13, v0, v10
	v_add_f16_e32 v5, v14, v5
	v_add_f16_e32 v14, v0, v10
	v_mul_f16_e32 v0, -0.5, v16
	v_mul_f16_e32 v10, 0xbaee, v8
	v_mul_f16_e32 v22, 0x3aee, v18
	v_mul_f16_e32 v21, -0.5, v12
	v_fma_f16 v0, v12, s3, v0
	v_fma_f16 v10, v18, 0.5, v10
	v_fma_f16 v8, v8, 0.5, v22
	v_fma_f16 v12, v16, s2, v21
	v_sub_f16_e32 v16, v11, v0
	v_sub_f16_e32 v18, v17, v10
	;; [unrolled: 1-line block ×3, first 2 shown]
	v_add_f16_e32 v11, v11, v0
	v_add_f16_e32 v17, v17, v10
	v_add_f16_e32 v6, v6, v8
	v_mov_b32_e32 v10, v15
	v_mov_b32_e32 v0, s11
	v_add_co_u32_e32 v8, vcc, s10, v3
	v_add_u32_e32 v15, 56, v7
	v_addc_co_u32_e32 v4, vcc, v0, v4, vcc
	v_lshlrev_b64 v[0:1], 2, v[1:2]
	v_mad_u64_u32 v[2:3], s[0:1], s20, v15, 0
	v_add_co_u32_e32 v8, vcc, v8, v0
	v_sub_f16_e32 v21, v20, v12
	v_add_f16_e32 v12, v20, v12
	v_addc_co_u32_e32 v20, vcc, v4, v1, vcc
	v_lshlrev_b64 v[0:1], 2, v[9:10]
	v_mad_u64_u32 v[3:4], s[0:1], s21, v15, v[3:4]
	v_add_co_u32_e32 v0, vcc, v8, v0
	v_addc_co_u32_e32 v1, vcc, v20, v1, vcc
	v_pack_b32_f16 v4, v14, v5
	global_store_dword v[0:1], v4, off
	v_add_u32_e32 v4, 0x70, v7
	v_lshlrev_b64 v[0:1], 2, v[2:3]
	v_mad_u64_u32 v[2:3], s[0:1], s20, v4, 0
	v_add_u32_e32 v9, 0xa8, v7
	v_add_co_u32_e32 v0, vcc, v8, v0
	v_mad_u64_u32 v[3:4], s[0:1], s21, v4, v[3:4]
	v_mad_u64_u32 v[4:5], s[0:1], s20, v9, 0
	v_addc_co_u32_e32 v1, vcc, v20, v1, vcc
	v_pack_b32_f16 v6, v6, v17
	global_store_dword v[0:1], v6, off
	v_lshlrev_b64 v[0:1], 2, v[2:3]
	v_mov_b32_e32 v2, v5
	v_mad_u64_u32 v[2:3], s[0:1], s21, v9, v[2:3]
	v_add_co_u32_e32 v0, vcc, v8, v0
	v_addc_co_u32_e32 v1, vcc, v20, v1, vcc
	v_pack_b32_f16 v3, v12, v11
	v_mov_b32_e32 v5, v2
	global_store_dword v[0:1], v3, off
	v_lshlrev_b64 v[0:1], 2, v[4:5]
	v_add_u32_e32 v4, 0xe0, v7
	v_mad_u64_u32 v[2:3], s[0:1], s20, v4, 0
	v_add_u32_e32 v7, 0x118, v7
	v_add_co_u32_e32 v0, vcc, v8, v0
	v_mad_u64_u32 v[3:4], s[0:1], s21, v4, v[3:4]
	v_mad_u64_u32 v[4:5], s[0:1], s20, v7, 0
	v_addc_co_u32_e32 v1, vcc, v20, v1, vcc
	v_pack_b32_f16 v6, v13, v19
	global_store_dword v[0:1], v6, off
	v_lshlrev_b64 v[0:1], 2, v[2:3]
	v_mov_b32_e32 v2, v5
	v_mad_u64_u32 v[2:3], s[0:1], s21, v7, v[2:3]
	v_add_co_u32_e32 v0, vcc, v8, v0
	v_addc_co_u32_e32 v1, vcc, v20, v1, vcc
	v_pack_b32_f16 v3, v22, v18
	v_mov_b32_e32 v5, v2
	global_store_dword v[0:1], v3, off
	v_lshlrev_b64 v[0:1], 2, v[4:5]
	v_pack_b32_f16 v2, v21, v16
	v_add_co_u32_e32 v0, vcc, v8, v0
	v_addc_co_u32_e32 v1, vcc, v20, v1, vcc
	global_store_dword v[0:1], v2, off
.LBB0_27:
	s_endpgm
	.section	.rodata,"a",@progbits
	.p2align	6, 0x0
	.amdhsa_kernel fft_rtc_fwd_len336_factors_8_7_6_wgs_112_tpt_56_halfLds_half_op_CI_CI_sbrr_dirReg
		.amdhsa_group_segment_fixed_size 0
		.amdhsa_private_segment_fixed_size 0
		.amdhsa_kernarg_size 104
		.amdhsa_user_sgpr_count 6
		.amdhsa_user_sgpr_private_segment_buffer 1
		.amdhsa_user_sgpr_dispatch_ptr 0
		.amdhsa_user_sgpr_queue_ptr 0
		.amdhsa_user_sgpr_kernarg_segment_ptr 1
		.amdhsa_user_sgpr_dispatch_id 0
		.amdhsa_user_sgpr_flat_scratch_init 0
		.amdhsa_user_sgpr_private_segment_size 0
		.amdhsa_uses_dynamic_stack 0
		.amdhsa_system_sgpr_private_segment_wavefront_offset 0
		.amdhsa_system_sgpr_workgroup_id_x 1
		.amdhsa_system_sgpr_workgroup_id_y 0
		.amdhsa_system_sgpr_workgroup_id_z 0
		.amdhsa_system_sgpr_workgroup_info 0
		.amdhsa_system_vgpr_workitem_id 0
		.amdhsa_next_free_vgpr 41
		.amdhsa_next_free_sgpr 32
		.amdhsa_reserve_vcc 1
		.amdhsa_reserve_flat_scratch 0
		.amdhsa_float_round_mode_32 0
		.amdhsa_float_round_mode_16_64 0
		.amdhsa_float_denorm_mode_32 3
		.amdhsa_float_denorm_mode_16_64 3
		.amdhsa_dx10_clamp 1
		.amdhsa_ieee_mode 1
		.amdhsa_fp16_overflow 0
		.amdhsa_exception_fp_ieee_invalid_op 0
		.amdhsa_exception_fp_denorm_src 0
		.amdhsa_exception_fp_ieee_div_zero 0
		.amdhsa_exception_fp_ieee_overflow 0
		.amdhsa_exception_fp_ieee_underflow 0
		.amdhsa_exception_fp_ieee_inexact 0
		.amdhsa_exception_int_div_zero 0
	.end_amdhsa_kernel
	.text
.Lfunc_end0:
	.size	fft_rtc_fwd_len336_factors_8_7_6_wgs_112_tpt_56_halfLds_half_op_CI_CI_sbrr_dirReg, .Lfunc_end0-fft_rtc_fwd_len336_factors_8_7_6_wgs_112_tpt_56_halfLds_half_op_CI_CI_sbrr_dirReg
                                        ; -- End function
	.section	.AMDGPU.csdata,"",@progbits
; Kernel info:
; codeLenInByte = 4660
; NumSgprs: 36
; NumVgprs: 41
; ScratchSize: 0
; MemoryBound: 0
; FloatMode: 240
; IeeeMode: 1
; LDSByteSize: 0 bytes/workgroup (compile time only)
; SGPRBlocks: 4
; VGPRBlocks: 10
; NumSGPRsForWavesPerEU: 36
; NumVGPRsForWavesPerEU: 41
; Occupancy: 5
; WaveLimiterHint : 1
; COMPUTE_PGM_RSRC2:SCRATCH_EN: 0
; COMPUTE_PGM_RSRC2:USER_SGPR: 6
; COMPUTE_PGM_RSRC2:TRAP_HANDLER: 0
; COMPUTE_PGM_RSRC2:TGID_X_EN: 1
; COMPUTE_PGM_RSRC2:TGID_Y_EN: 0
; COMPUTE_PGM_RSRC2:TGID_Z_EN: 0
; COMPUTE_PGM_RSRC2:TIDIG_COMP_CNT: 0
	.type	__hip_cuid_c3e336cf339e9631,@object ; @__hip_cuid_c3e336cf339e9631
	.section	.bss,"aw",@nobits
	.globl	__hip_cuid_c3e336cf339e9631
__hip_cuid_c3e336cf339e9631:
	.byte	0                               ; 0x0
	.size	__hip_cuid_c3e336cf339e9631, 1

	.ident	"AMD clang version 19.0.0git (https://github.com/RadeonOpenCompute/llvm-project roc-6.4.0 25133 c7fe45cf4b819c5991fe208aaa96edf142730f1d)"
	.section	".note.GNU-stack","",@progbits
	.addrsig
	.addrsig_sym __hip_cuid_c3e336cf339e9631
	.amdgpu_metadata
---
amdhsa.kernels:
  - .args:
      - .actual_access:  read_only
        .address_space:  global
        .offset:         0
        .size:           8
        .value_kind:     global_buffer
      - .offset:         8
        .size:           8
        .value_kind:     by_value
      - .actual_access:  read_only
        .address_space:  global
        .offset:         16
        .size:           8
        .value_kind:     global_buffer
      - .actual_access:  read_only
        .address_space:  global
        .offset:         24
        .size:           8
        .value_kind:     global_buffer
      - .actual_access:  read_only
        .address_space:  global
        .offset:         32
        .size:           8
        .value_kind:     global_buffer
      - .offset:         40
        .size:           8
        .value_kind:     by_value
      - .actual_access:  read_only
        .address_space:  global
        .offset:         48
        .size:           8
        .value_kind:     global_buffer
      - .actual_access:  read_only
        .address_space:  global
        .offset:         56
        .size:           8
        .value_kind:     global_buffer
      - .offset:         64
        .size:           4
        .value_kind:     by_value
      - .actual_access:  read_only
        .address_space:  global
        .offset:         72
        .size:           8
        .value_kind:     global_buffer
      - .actual_access:  read_only
        .address_space:  global
        .offset:         80
        .size:           8
        .value_kind:     global_buffer
      - .actual_access:  read_only
        .address_space:  global
        .offset:         88
        .size:           8
        .value_kind:     global_buffer
      - .actual_access:  write_only
        .address_space:  global
        .offset:         96
        .size:           8
        .value_kind:     global_buffer
    .group_segment_fixed_size: 0
    .kernarg_segment_align: 8
    .kernarg_segment_size: 104
    .language:       OpenCL C
    .language_version:
      - 2
      - 0
    .max_flat_workgroup_size: 112
    .name:           fft_rtc_fwd_len336_factors_8_7_6_wgs_112_tpt_56_halfLds_half_op_CI_CI_sbrr_dirReg
    .private_segment_fixed_size: 0
    .sgpr_count:     36
    .sgpr_spill_count: 0
    .symbol:         fft_rtc_fwd_len336_factors_8_7_6_wgs_112_tpt_56_halfLds_half_op_CI_CI_sbrr_dirReg.kd
    .uniform_work_group_size: 1
    .uses_dynamic_stack: false
    .vgpr_count:     41
    .vgpr_spill_count: 0
    .wavefront_size: 64
amdhsa.target:   amdgcn-amd-amdhsa--gfx906
amdhsa.version:
  - 1
  - 2
...

	.end_amdgpu_metadata
